;; amdgpu-corpus repo=ROCm/rocFFT kind=compiled arch=gfx906 opt=O3
	.text
	.amdgcn_target "amdgcn-amd-amdhsa--gfx906"
	.amdhsa_code_object_version 6
	.protected	fft_rtc_fwd_len2187_factors_3_3_3_3_3_3_3_wgs_243_tpt_243_halfLds_dp_ip_CI_sbrr_dirReg ; -- Begin function fft_rtc_fwd_len2187_factors_3_3_3_3_3_3_3_wgs_243_tpt_243_halfLds_dp_ip_CI_sbrr_dirReg
	.globl	fft_rtc_fwd_len2187_factors_3_3_3_3_3_3_3_wgs_243_tpt_243_halfLds_dp_ip_CI_sbrr_dirReg
	.p2align	8
	.type	fft_rtc_fwd_len2187_factors_3_3_3_3_3_3_3_wgs_243_tpt_243_halfLds_dp_ip_CI_sbrr_dirReg,@function
fft_rtc_fwd_len2187_factors_3_3_3_3_3_3_3_wgs_243_tpt_243_halfLds_dp_ip_CI_sbrr_dirReg: ; @fft_rtc_fwd_len2187_factors_3_3_3_3_3_3_3_wgs_243_tpt_243_halfLds_dp_ip_CI_sbrr_dirReg
; %bb.0:
	s_load_dwordx2 s[14:15], s[4:5], 0x18
	s_load_dwordx4 s[8:11], s[4:5], 0x0
	s_load_dwordx2 s[12:13], s[4:5], 0x50
	v_mul_u32_u24_e32 v1, 0x10e, v0
	v_add_u32_sdwa v5, s6, v1 dst_sel:DWORD dst_unused:UNUSED_PAD src0_sel:DWORD src1_sel:WORD_1
	s_waitcnt lgkmcnt(0)
	s_load_dwordx2 s[2:3], s[14:15], 0x0
	v_cmp_lt_u64_e64 s[0:1], s[10:11], 2
	v_mov_b32_e32 v3, 0
	v_mov_b32_e32 v1, 0
	;; [unrolled: 1-line block ×3, first 2 shown]
	s_and_b64 vcc, exec, s[0:1]
	v_mov_b32_e32 v2, 0
	s_cbranch_vccnz .LBB0_8
; %bb.1:
	s_load_dwordx2 s[0:1], s[4:5], 0x10
	s_add_u32 s6, s14, 8
	s_addc_u32 s7, s15, 0
	v_mov_b32_e32 v1, 0
	v_mov_b32_e32 v2, 0
	s_waitcnt lgkmcnt(0)
	s_add_u32 s16, s0, 8
	s_addc_u32 s17, s1, 0
	s_mov_b64 s[18:19], 1
.LBB0_2:                                ; =>This Inner Loop Header: Depth=1
	s_load_dwordx2 s[20:21], s[16:17], 0x0
                                        ; implicit-def: $vgpr7_vgpr8
	s_waitcnt lgkmcnt(0)
	v_or_b32_e32 v4, s21, v6
	v_cmp_ne_u64_e32 vcc, 0, v[3:4]
	s_and_saveexec_b64 s[0:1], vcc
	s_xor_b64 s[22:23], exec, s[0:1]
	s_cbranch_execz .LBB0_4
; %bb.3:                                ;   in Loop: Header=BB0_2 Depth=1
	v_cvt_f32_u32_e32 v4, s20
	v_cvt_f32_u32_e32 v7, s21
	s_sub_u32 s0, 0, s20
	s_subb_u32 s1, 0, s21
	v_mac_f32_e32 v4, 0x4f800000, v7
	v_rcp_f32_e32 v4, v4
	v_mul_f32_e32 v4, 0x5f7ffffc, v4
	v_mul_f32_e32 v7, 0x2f800000, v4
	v_trunc_f32_e32 v7, v7
	v_mac_f32_e32 v4, 0xcf800000, v7
	v_cvt_u32_f32_e32 v7, v7
	v_cvt_u32_f32_e32 v4, v4
	v_mul_lo_u32 v8, s0, v7
	v_mul_hi_u32 v9, s0, v4
	v_mul_lo_u32 v11, s1, v4
	v_mul_lo_u32 v10, s0, v4
	v_add_u32_e32 v8, v9, v8
	v_add_u32_e32 v8, v8, v11
	v_mul_hi_u32 v9, v4, v10
	v_mul_lo_u32 v11, v4, v8
	v_mul_hi_u32 v13, v4, v8
	v_mul_hi_u32 v12, v7, v10
	v_mul_lo_u32 v10, v7, v10
	v_mul_hi_u32 v14, v7, v8
	v_add_co_u32_e32 v9, vcc, v9, v11
	v_addc_co_u32_e32 v11, vcc, 0, v13, vcc
	v_mul_lo_u32 v8, v7, v8
	v_add_co_u32_e32 v9, vcc, v9, v10
	v_addc_co_u32_e32 v9, vcc, v11, v12, vcc
	v_addc_co_u32_e32 v10, vcc, 0, v14, vcc
	v_add_co_u32_e32 v8, vcc, v9, v8
	v_addc_co_u32_e32 v9, vcc, 0, v10, vcc
	v_add_co_u32_e32 v4, vcc, v4, v8
	v_addc_co_u32_e32 v7, vcc, v7, v9, vcc
	v_mul_lo_u32 v8, s0, v7
	v_mul_hi_u32 v9, s0, v4
	v_mul_lo_u32 v10, s1, v4
	v_mul_lo_u32 v11, s0, v4
	v_add_u32_e32 v8, v9, v8
	v_add_u32_e32 v8, v8, v10
	v_mul_lo_u32 v12, v4, v8
	v_mul_hi_u32 v13, v4, v11
	v_mul_hi_u32 v14, v4, v8
	;; [unrolled: 1-line block ×3, first 2 shown]
	v_mul_lo_u32 v11, v7, v11
	v_mul_hi_u32 v9, v7, v8
	v_add_co_u32_e32 v12, vcc, v13, v12
	v_addc_co_u32_e32 v13, vcc, 0, v14, vcc
	v_mul_lo_u32 v8, v7, v8
	v_add_co_u32_e32 v11, vcc, v12, v11
	v_addc_co_u32_e32 v10, vcc, v13, v10, vcc
	v_addc_co_u32_e32 v9, vcc, 0, v9, vcc
	v_add_co_u32_e32 v8, vcc, v10, v8
	v_addc_co_u32_e32 v9, vcc, 0, v9, vcc
	v_add_co_u32_e32 v4, vcc, v4, v8
	v_addc_co_u32_e32 v9, vcc, v7, v9, vcc
	v_mad_u64_u32 v[7:8], s[0:1], v5, v9, 0
	v_mul_hi_u32 v10, v5, v4
	v_add_co_u32_e32 v11, vcc, v10, v7
	v_addc_co_u32_e32 v12, vcc, 0, v8, vcc
	v_mad_u64_u32 v[7:8], s[0:1], v6, v4, 0
	v_mad_u64_u32 v[9:10], s[0:1], v6, v9, 0
	v_add_co_u32_e32 v4, vcc, v11, v7
	v_addc_co_u32_e32 v4, vcc, v12, v8, vcc
	v_addc_co_u32_e32 v7, vcc, 0, v10, vcc
	v_add_co_u32_e32 v4, vcc, v4, v9
	v_addc_co_u32_e32 v9, vcc, 0, v7, vcc
	v_mul_lo_u32 v10, s21, v4
	v_mul_lo_u32 v11, s20, v9
	v_mad_u64_u32 v[7:8], s[0:1], s20, v4, 0
	v_add3_u32 v8, v8, v11, v10
	v_sub_u32_e32 v10, v6, v8
	v_mov_b32_e32 v11, s21
	v_sub_co_u32_e32 v7, vcc, v5, v7
	v_subb_co_u32_e64 v10, s[0:1], v10, v11, vcc
	v_subrev_co_u32_e64 v11, s[0:1], s20, v7
	v_subbrev_co_u32_e64 v10, s[0:1], 0, v10, s[0:1]
	v_cmp_le_u32_e64 s[0:1], s21, v10
	v_cndmask_b32_e64 v12, 0, -1, s[0:1]
	v_cmp_le_u32_e64 s[0:1], s20, v11
	v_cndmask_b32_e64 v11, 0, -1, s[0:1]
	v_cmp_eq_u32_e64 s[0:1], s21, v10
	v_cndmask_b32_e64 v10, v12, v11, s[0:1]
	v_add_co_u32_e64 v11, s[0:1], 2, v4
	v_addc_co_u32_e64 v12, s[0:1], 0, v9, s[0:1]
	v_add_co_u32_e64 v13, s[0:1], 1, v4
	v_addc_co_u32_e64 v14, s[0:1], 0, v9, s[0:1]
	v_subb_co_u32_e32 v8, vcc, v6, v8, vcc
	v_cmp_ne_u32_e64 s[0:1], 0, v10
	v_cmp_le_u32_e32 vcc, s21, v8
	v_cndmask_b32_e64 v10, v14, v12, s[0:1]
	v_cndmask_b32_e64 v12, 0, -1, vcc
	v_cmp_le_u32_e32 vcc, s20, v7
	v_cndmask_b32_e64 v7, 0, -1, vcc
	v_cmp_eq_u32_e32 vcc, s21, v8
	v_cndmask_b32_e32 v7, v12, v7, vcc
	v_cmp_ne_u32_e32 vcc, 0, v7
	v_cndmask_b32_e64 v7, v13, v11, s[0:1]
	v_cndmask_b32_e32 v8, v9, v10, vcc
	v_cndmask_b32_e32 v7, v4, v7, vcc
.LBB0_4:                                ;   in Loop: Header=BB0_2 Depth=1
	s_andn2_saveexec_b64 s[0:1], s[22:23]
	s_cbranch_execz .LBB0_6
; %bb.5:                                ;   in Loop: Header=BB0_2 Depth=1
	v_cvt_f32_u32_e32 v4, s20
	s_sub_i32 s22, 0, s20
	v_rcp_iflag_f32_e32 v4, v4
	v_mul_f32_e32 v4, 0x4f7ffffe, v4
	v_cvt_u32_f32_e32 v4, v4
	v_mul_lo_u32 v7, s22, v4
	v_mul_hi_u32 v7, v4, v7
	v_add_u32_e32 v4, v4, v7
	v_mul_hi_u32 v4, v5, v4
	v_mul_lo_u32 v7, v4, s20
	v_add_u32_e32 v8, 1, v4
	v_sub_u32_e32 v7, v5, v7
	v_subrev_u32_e32 v9, s20, v7
	v_cmp_le_u32_e32 vcc, s20, v7
	v_cndmask_b32_e32 v7, v7, v9, vcc
	v_cndmask_b32_e32 v4, v4, v8, vcc
	v_add_u32_e32 v8, 1, v4
	v_cmp_le_u32_e32 vcc, s20, v7
	v_cndmask_b32_e32 v7, v4, v8, vcc
	v_mov_b32_e32 v8, v3
.LBB0_6:                                ;   in Loop: Header=BB0_2 Depth=1
	s_or_b64 exec, exec, s[0:1]
	v_mul_lo_u32 v4, v8, s20
	v_mul_lo_u32 v11, v7, s21
	v_mad_u64_u32 v[9:10], s[0:1], v7, s20, 0
	s_load_dwordx2 s[0:1], s[6:7], 0x0
	s_add_u32 s18, s18, 1
	v_add3_u32 v4, v10, v11, v4
	v_sub_co_u32_e32 v5, vcc, v5, v9
	v_subb_co_u32_e32 v4, vcc, v6, v4, vcc
	s_waitcnt lgkmcnt(0)
	v_mul_lo_u32 v4, s0, v4
	v_mul_lo_u32 v6, s1, v5
	v_mad_u64_u32 v[1:2], s[0:1], s0, v5, v[1:2]
	s_addc_u32 s19, s19, 0
	s_add_u32 s6, s6, 8
	v_add3_u32 v2, v6, v2, v4
	v_mov_b32_e32 v4, s10
	v_mov_b32_e32 v5, s11
	s_addc_u32 s7, s7, 0
	v_cmp_ge_u64_e32 vcc, s[18:19], v[4:5]
	s_add_u32 s16, s16, 8
	s_addc_u32 s17, s17, 0
	s_cbranch_vccnz .LBB0_9
; %bb.7:                                ;   in Loop: Header=BB0_2 Depth=1
	v_mov_b32_e32 v5, v7
	v_mov_b32_e32 v6, v8
	s_branch .LBB0_2
.LBB0_8:
	v_mov_b32_e32 v8, v6
	v_mov_b32_e32 v7, v5
.LBB0_9:
	s_lshl_b64 s[0:1], s[10:11], 3
	s_add_u32 s0, s14, s0
	s_addc_u32 s1, s15, s1
	s_load_dwordx2 s[6:7], s[0:1], 0x0
	s_load_dwordx2 s[10:11], s[4:5], 0x20
                                        ; implicit-def: $vgpr39
                                        ; implicit-def: $vgpr40
	s_waitcnt lgkmcnt(0)
	v_mad_u64_u32 v[1:2], s[0:1], s6, v7, v[1:2]
	s_mov_b32 s0, 0x10db20b
	v_mul_lo_u32 v3, s6, v8
	v_mul_lo_u32 v4, s7, v7
	v_mul_hi_u32 v5, v0, s0
	v_cmp_gt_u64_e32 vcc, s[10:11], v[7:8]
	v_cmp_le_u64_e64 s[0:1], s[10:11], v[7:8]
	v_add3_u32 v2, v4, v2, v3
	v_mul_u32_u24_e32 v3, 0xf3, v5
	v_sub_u32_e32 v38, v0, v3
	s_and_saveexec_b64 s[4:5], s[0:1]
	s_xor_b64 s[0:1], exec, s[4:5]
; %bb.10:
	v_add_u32_e32 v39, 0xf3, v38
	v_add_u32_e32 v40, 0x1e6, v38
; %bb.11:
	s_or_saveexec_b64 s[4:5], s[0:1]
	v_lshlrev_b64 v[36:37], 4, v[1:2]
                                        ; implicit-def: $vgpr10_vgpr11
                                        ; implicit-def: $vgpr6_vgpr7
                                        ; implicit-def: $vgpr2_vgpr3
                                        ; implicit-def: $vgpr18_vgpr19
                                        ; implicit-def: $vgpr22_vgpr23
                                        ; implicit-def: $vgpr14_vgpr15
                                        ; implicit-def: $vgpr30_vgpr31
                                        ; implicit-def: $vgpr34_vgpr35
                                        ; implicit-def: $vgpr26_vgpr27
	s_xor_b64 exec, exec, s[4:5]
	s_cbranch_execz .LBB0_13
; %bb.12:
	v_mad_u64_u32 v[0:1], s[0:1], s2, v38, 0
	v_add_u32_e32 v5, 0x2d9, v38
	v_mov_b32_e32 v4, s13
	v_mad_u64_u32 v[1:2], s[0:1], s3, v38, v[1:2]
	v_mad_u64_u32 v[2:3], s[0:1], s2, v5, 0
	v_add_co_u32_e64 v8, s[0:1], s12, v36
	v_addc_co_u32_e64 v9, s[0:1], v4, v37, s[0:1]
	v_mad_u64_u32 v[3:4], s[0:1], s3, v5, v[3:4]
	v_add_u32_e32 v6, 0x5b2, v38
	v_mad_u64_u32 v[4:5], s[0:1], s2, v6, 0
	v_lshlrev_b64 v[0:1], 4, v[0:1]
	v_add_u32_e32 v39, 0xf3, v38
	v_add_co_u32_e64 v41, s[0:1], v8, v0
	v_addc_co_u32_e64 v42, s[0:1], v9, v1, s[0:1]
	v_lshlrev_b64 v[0:1], 4, v[2:3]
	v_mov_b32_e32 v2, v5
	v_mad_u64_u32 v[2:3], s[0:1], s3, v6, v[2:3]
	v_mad_u64_u32 v[6:7], s[0:1], s2, v39, 0
	v_add_co_u32_e64 v43, s[0:1], v8, v0
	v_mov_b32_e32 v5, v2
	v_mov_b32_e32 v2, v7
	v_addc_co_u32_e64 v44, s[0:1], v9, v1, s[0:1]
	v_lshlrev_b64 v[0:1], 4, v[4:5]
	v_mad_u64_u32 v[2:3], s[0:1], s3, v39, v[2:3]
	v_add_u32_e32 v5, 0x3cc, v38
	v_mad_u64_u32 v[3:4], s[0:1], s2, v5, 0
	v_add_co_u32_e64 v45, s[0:1], v8, v0
	v_mov_b32_e32 v7, v2
	v_mov_b32_e32 v2, v4
	v_addc_co_u32_e64 v46, s[0:1], v9, v1, s[0:1]
	v_lshlrev_b64 v[0:1], 4, v[6:7]
	v_mad_u64_u32 v[4:5], s[0:1], s3, v5, v[2:3]
	v_add_u32_e32 v7, 0x6a5, v38
	v_mad_u64_u32 v[5:6], s[0:1], s2, v7, 0
	v_add_co_u32_e64 v47, s[0:1], v8, v0
	v_mov_b32_e32 v2, v6
	v_addc_co_u32_e64 v48, s[0:1], v9, v1, s[0:1]
	v_lshlrev_b64 v[0:1], 4, v[3:4]
	v_mad_u64_u32 v[2:3], s[0:1], s3, v7, v[2:3]
	v_add_u32_e32 v40, 0x1e6, v38
	v_mad_u64_u32 v[3:4], s[0:1], s2, v40, 0
	v_add_co_u32_e64 v49, s[0:1], v8, v0
	v_mov_b32_e32 v6, v2
	v_mov_b32_e32 v2, v4
	v_addc_co_u32_e64 v50, s[0:1], v9, v1, s[0:1]
	v_lshlrev_b64 v[0:1], 4, v[5:6]
	v_mad_u64_u32 v[4:5], s[0:1], s3, v40, v[2:3]
	v_add_u32_e32 v7, 0x4bf, v38
	v_mad_u64_u32 v[5:6], s[0:1], s2, v7, 0
	v_add_co_u32_e64 v51, s[0:1], v8, v0
	v_mov_b32_e32 v2, v6
	v_addc_co_u32_e64 v52, s[0:1], v9, v1, s[0:1]
	v_lshlrev_b64 v[0:1], 4, v[3:4]
	v_mad_u64_u32 v[2:3], s[0:1], s3, v7, v[2:3]
	v_add_u32_e32 v7, 0x798, v38
	v_mad_u64_u32 v[3:4], s[0:1], s2, v7, 0
	v_add_co_u32_e64 v53, s[0:1], v8, v0
	v_mov_b32_e32 v6, v2
	v_mov_b32_e32 v2, v4
	v_addc_co_u32_e64 v54, s[0:1], v9, v1, s[0:1]
	v_lshlrev_b64 v[0:1], 4, v[5:6]
	v_mad_u64_u32 v[4:5], s[0:1], s3, v7, v[2:3]
	v_add_co_u32_e64 v55, s[0:1], v8, v0
	v_addc_co_u32_e64 v56, s[0:1], v9, v1, s[0:1]
	v_lshlrev_b64 v[0:1], 4, v[3:4]
	v_add_co_u32_e64 v57, s[0:1], v8, v0
	v_addc_co_u32_e64 v58, s[0:1], v9, v1, s[0:1]
	global_load_dwordx4 v[24:27], v[41:42], off
	global_load_dwordx4 v[32:35], v[43:44], off
	;; [unrolled: 1-line block ×9, first 2 shown]
.LBB0_13:
	s_or_b64 exec, exec, s[4:5]
	s_waitcnt vmcnt(7)
	v_add_f64 v[41:42], v[32:33], v[24:25]
	v_add_f64 v[43:44], v[34:35], v[26:27]
	s_waitcnt vmcnt(6)
	v_add_f64 v[47:48], v[30:31], v[34:35]
	v_add_f64 v[45:46], v[28:29], v[32:33]
	s_waitcnt vmcnt(4)
	v_add_f64 v[49:50], v[20:21], v[12:13]
	v_add_f64 v[34:35], v[34:35], -v[30:31]
	v_add_f64 v[32:33], v[32:33], -v[28:29]
	s_mov_b32 s4, 0xe8584caa
	v_add_f64 v[28:29], v[28:29], v[41:42]
	v_add_f64 v[30:31], v[30:31], v[43:44]
	;; [unrolled: 1-line block ×3, first 2 shown]
	v_fma_f64 v[43:44], v[47:48], -0.5, v[26:27]
	s_waitcnt vmcnt(3)
	v_add_f64 v[26:27], v[16:17], v[20:21]
	v_fma_f64 v[24:25], v[45:46], -0.5, v[24:25]
	v_add_f64 v[45:46], v[18:19], v[22:23]
	v_add_f64 v[20:21], v[20:21], -v[16:17]
	v_add_f64 v[16:17], v[16:17], v[49:50]
	s_waitcnt vmcnt(0)
	v_add_f64 v[49:50], v[8:9], v[4:5]
	v_add_f64 v[22:23], v[22:23], -v[18:19]
	v_add_f64 v[18:19], v[18:19], v[41:42]
	v_add_f64 v[41:42], v[4:5], v[0:1]
	;; [unrolled: 1-line block ×3, first 2 shown]
	v_fma_f64 v[12:13], v[26:27], -0.5, v[12:13]
	v_fma_f64 v[45:46], v[45:46], -0.5, v[14:15]
	v_add_f64 v[14:15], v[6:7], -v[10:11]
	v_add_f64 v[6:7], v[10:11], v[6:7]
	v_fma_f64 v[0:1], v[49:50], -0.5, v[0:1]
	s_mov_b32 s5, 0x3febb67a
	s_mov_b32 s7, 0xbfebb67a
	;; [unrolled: 1-line block ×3, first 2 shown]
	v_add_f64 v[51:52], v[4:5], -v[8:9]
	v_add_f64 v[4:5], v[8:9], v[41:42]
	v_add_f64 v[41:42], v[10:11], v[47:48]
	v_fma_f64 v[8:9], v[34:35], s[4:5], v[24:25]
	v_fma_f64 v[10:11], v[34:35], s[6:7], v[24:25]
	;; [unrolled: 1-line block ×4, first 2 shown]
	v_fma_f64 v[34:35], v[6:7], -0.5, v[2:3]
	v_fma_f64 v[26:27], v[14:15], s[4:5], v[0:1]
	v_fma_f64 v[0:1], v[14:15], s[6:7], v[0:1]
	v_mad_u32_u24 v2, v38, 24, 0
	v_mad_i32_i24 v22, v39, 24, 0
	ds_write2_b64 v2, v[28:29], v[8:9] offset1:1
	ds_write_b64 v2, v[10:11] offset:16
	ds_write2_b64 v22, v[16:17], v[24:25] offset1:1
	ds_write_b64 v22, v[12:13] offset:16
	v_fma_f64 v[15:16], v[32:33], s[6:7], v[43:44]
	v_fma_f64 v[32:33], v[32:33], s[4:5], v[43:44]
	v_fma_f64 v[43:44], v[20:21], s[6:7], v[45:46]
	v_fma_f64 v[20:21], v[20:21], s[4:5], v[45:46]
	v_mad_i32_i24 v23, v40, 24, 0
	v_fma_f64 v[45:46], v[51:52], s[6:7], v[34:35]
	ds_write2_b64 v23, v[4:5], v[26:27] offset1:1
	ds_write_b64 v23, v[0:1] offset:16
	v_lshlrev_b32_e32 v0, 4, v38
	v_fma_f64 v[34:35], v[51:52], s[4:5], v[34:35]
	v_sub_u32_e32 v24, v2, v0
	v_add_u32_e32 v25, 0x1680, v24
	v_add_u32_e32 v26, 0x25c0, v24
	v_lshlrev_b32_e32 v27, 4, v39
	v_lshlrev_b32_e32 v29, 4, v40
	s_movk_i32 s0, 0xab
	s_waitcnt lgkmcnt(0)
	s_barrier
	ds_read2_b64 v[3:6], v25 offset0:9 offset1:252
	ds_read2_b64 v[7:10], v26 offset0:7 offset1:250
	v_sub_u32_e32 v0, v22, v27
	v_add_u32_e32 v28, 0x3500, v24
	v_sub_u32_e32 v1, v23, v29
	ds_read_b64 v[61:62], v24
	ds_read_b64 v[63:64], v0
	ds_read_b64 v[65:66], v1
	ds_read2_b64 v[11:14], v28 offset0:5 offset1:248
	s_waitcnt lgkmcnt(0)
	s_barrier
	ds_write2_b64 v2, v[30:31], v[15:16] offset1:1
	ds_write_b64 v2, v[32:33] offset:16
	ds_write2_b64 v22, v[18:19], v[43:44] offset1:1
	ds_write_b64 v22, v[20:21] offset:16
	;; [unrolled: 2-line block ×3, first 2 shown]
	v_mul_lo_u16_sdwa v2, v38, s0 dst_sel:DWORD dst_unused:UNUSED_PAD src0_sel:BYTE_0 src1_sel:DWORD
	v_lshrrev_b16_e32 v21, 9, v2
	v_mul_lo_u16_e32 v2, 3, v21
	v_sub_u16_e32 v69, v38, v2
	v_mov_b32_e32 v2, 5
	v_lshlrev_b32_sdwa v19, v2, v69 dst_sel:DWORD dst_unused:UNUSED_PAD src0_sel:DWORD src1_sel:BYTE_0
	s_waitcnt lgkmcnt(0)
	s_barrier
	global_load_dwordx4 v[15:18], v19, s[8:9]
	s_mov_b32 s0, 0xaaab
	v_mul_u32_u24_sdwa v20, v39, s0 dst_sel:DWORD dst_unused:UNUSED_PAD src0_sel:WORD_0 src1_sel:DWORD
	v_lshrrev_b32_e32 v70, 17, v20
	v_mul_lo_u16_e32 v20, 3, v70
	v_sub_u16_e32 v71, v39, v20
	v_lshlrev_b32_e32 v20, 5, v71
	global_load_dwordx4 v[30:33], v20, s[8:9]
	global_load_dwordx4 v[41:44], v19, s[8:9] offset:16
	v_mul_u32_u24_sdwa v19, v40, s0 dst_sel:DWORD dst_unused:UNUSED_PAD src0_sel:WORD_0 src1_sel:DWORD
	v_lshrrev_b32_e32 v72, 17, v19
	v_mul_lo_u16_e32 v19, 3, v72
	v_sub_u16_e32 v73, v40, v19
	v_lshlrev_b32_e32 v19, 5, v73
	global_load_dwordx4 v[45:48], v19, s[8:9]
	global_load_dwordx4 v[49:52], v20, s[8:9] offset:16
	global_load_dwordx4 v[53:56], v19, s[8:9] offset:16
	ds_read2_b64 v[57:60], v25 offset0:9 offset1:252
	s_mov_b32 s0, 0xe38f
	s_waitcnt vmcnt(5) lgkmcnt(0)
	v_mul_f64 v[34:35], v[57:58], v[17:18]
	v_mul_f64 v[67:68], v[3:4], v[17:18]
	ds_read2_b64 v[17:20], v26 offset0:7 offset1:250
	v_fma_f64 v[34:35], v[3:4], v[15:16], -v[34:35]
	s_waitcnt vmcnt(4)
	v_mul_f64 v[3:4], v[59:60], v[32:33]
	v_fma_f64 v[15:16], v[57:58], v[15:16], v[67:68]
	s_waitcnt vmcnt(3) lgkmcnt(0)
	v_mul_f64 v[57:58], v[19:20], v[43:44]
	v_mul_f64 v[43:44], v[9:10], v[43:44]
	;; [unrolled: 1-line block ×3, first 2 shown]
	v_fma_f64 v[67:68], v[5:6], v[30:31], -v[3:4]
	ds_read2_b64 v[3:6], v28 offset0:5 offset1:248
	v_fma_f64 v[9:10], v[9:10], v[41:42], -v[57:58]
	v_fma_f64 v[19:20], v[19:20], v[41:42], v[43:44]
	s_waitcnt vmcnt(2)
	v_mul_f64 v[41:42], v[7:8], v[47:48]
	v_fma_f64 v[30:31], v[59:60], v[30:31], v[32:33]
	s_waitcnt vmcnt(1) lgkmcnt(0)
	v_mul_f64 v[43:44], v[3:4], v[51:52]
	v_mul_f64 v[32:33], v[17:18], v[47:48]
	;; [unrolled: 1-line block ×3, first 2 shown]
	s_waitcnt vmcnt(0)
	v_mul_f64 v[51:52], v[5:6], v[55:56]
	v_mul_f64 v[55:56], v[13:14], v[55:56]
	v_add_f64 v[57:58], v[34:35], v[9:10]
	v_fma_f64 v[17:18], v[17:18], v[45:46], v[41:42]
	v_fma_f64 v[41:42], v[11:12], v[49:50], -v[43:44]
	v_fma_f64 v[32:33], v[7:8], v[45:46], -v[32:33]
	v_fma_f64 v[43:44], v[3:4], v[49:50], v[47:48]
	v_fma_f64 v[45:46], v[13:14], v[53:54], -v[51:52]
	v_fma_f64 v[47:48], v[5:6], v[53:54], v[55:56]
	v_add_f64 v[4:5], v[61:62], v[34:35]
	v_fma_f64 v[6:7], v[57:58], -0.5, v[61:62]
	v_add_f64 v[11:12], v[15:16], -v[19:20]
	v_add_f64 v[13:14], v[67:68], v[41:42]
	v_add_f64 v[57:58], v[63:64], v[67:68]
	v_add_f64 v[59:60], v[30:31], -v[43:44]
	v_add_f64 v[61:62], v[32:33], v[45:46]
	v_mov_b32_e32 v3, 3
	v_add_f64 v[4:5], v[4:5], v[9:10]
	v_mul_u32_u24_e32 v8, 0x48, v21
	v_fma_f64 v[55:56], v[11:12], s[4:5], v[6:7]
	v_fma_f64 v[13:14], v[13:14], -0.5, v[63:64]
	v_fma_f64 v[6:7], v[11:12], s[6:7], v[6:7]
	v_lshlrev_b32_sdwa v21, v3, v69 dst_sel:DWORD dst_unused:UNUSED_PAD src0_sel:DWORD src1_sel:BYTE_0
	v_add3_u32 v21, 0, v8, v21
	ds_read_b64 v[49:50], v24
	ds_read_b64 v[51:52], v0
	;; [unrolled: 1-line block ×3, first 2 shown]
	s_waitcnt lgkmcnt(0)
	s_barrier
	ds_write2_b64 v21, v[4:5], v[55:56] offset1:3
	v_add_f64 v[4:5], v[57:58], v[41:42]
	v_fma_f64 v[11:12], v[59:60], s[4:5], v[13:14]
	v_fma_f64 v[55:56], v[61:62], -0.5, v[65:66]
	v_add_f64 v[61:62], v[17:18], -v[47:48]
	ds_write_b64 v21, v[6:7] offset:48
	v_fma_f64 v[6:7], v[59:60], s[6:7], v[13:14]
	v_add_f64 v[57:58], v[65:66], v[32:33]
	v_mul_u32_u24_e32 v8, 0x48, v70
	v_lshlrev_b32_e32 v13, 3, v71
	v_add3_u32 v59, 0, v8, v13
	v_add_f64 v[13:14], v[49:50], v[15:16]
	v_add_f64 v[15:16], v[15:16], v[19:20]
	ds_write2_b64 v59, v[4:5], v[11:12] offset1:3
	v_fma_f64 v[11:12], v[61:62], s[4:5], v[55:56]
	ds_write_b64 v59, v[6:7] offset:48
	v_fma_f64 v[6:7], v[61:62], s[6:7], v[55:56]
	v_mul_u32_u24_e32 v8, 0x48, v72
	v_lshlrev_b32_e32 v55, 3, v73
	v_add3_u32 v60, 0, v8, v55
	v_add_f64 v[55:56], v[30:31], v[43:44]
	v_add_f64 v[4:5], v[57:58], v[45:46]
	;; [unrolled: 1-line block ×3, first 2 shown]
	v_fma_f64 v[49:50], v[15:16], -0.5, v[49:50]
	v_add_f64 v[34:35], v[34:35], -v[9:10]
	v_add_f64 v[30:31], v[51:52], v[30:31]
	v_add_f64 v[41:42], v[67:68], -v[41:42]
	v_add_f64 v[16:17], v[53:54], v[17:18]
	v_fma_f64 v[51:52], v[55:56], -0.5, v[51:52]
	v_add_f64 v[32:33], v[32:33], -v[45:46]
	v_fma_f64 v[53:54], v[57:58], -0.5, v[53:54]
	v_add_f64 v[19:20], v[13:14], v[19:20]
	v_fma_f64 v[45:46], v[34:35], s[6:7], v[49:50]
	v_fma_f64 v[34:35], v[34:35], s[4:5], v[49:50]
	v_add_f64 v[30:31], v[30:31], v[43:44]
	v_add_f64 v[16:17], v[16:17], v[47:48]
	v_fma_f64 v[43:44], v[41:42], s[6:7], v[51:52]
	v_fma_f64 v[41:42], v[41:42], s[4:5], v[51:52]
	;; [unrolled: 1-line block ×4, first 2 shown]
	ds_write2_b64 v60, v[4:5], v[11:12] offset1:3
	ds_write_b64 v60, v[6:7] offset:48
	s_waitcnt lgkmcnt(0)
	s_barrier
	ds_read_b64 v[61:62], v24
	ds_read_b64 v[63:64], v0
	;; [unrolled: 1-line block ×3, first 2 shown]
	ds_read2_b64 v[4:7], v25 offset0:9 offset1:252
	ds_read2_b64 v[8:11], v26 offset0:7 offset1:250
	;; [unrolled: 1-line block ×3, first 2 shown]
	s_waitcnt lgkmcnt(0)
	s_barrier
	ds_write2_b64 v21, v[19:20], v[45:46] offset1:3
	ds_write_b64 v21, v[34:35] offset:48
	ds_write2_b64 v59, v[30:31], v[43:44] offset1:3
	ds_write_b64 v59, v[41:42] offset:48
	;; [unrolled: 2-line block ×3, first 2 shown]
	v_mov_b32_e32 v16, 57
	v_mul_lo_u16_sdwa v16, v38, v16 dst_sel:DWORD dst_unused:UNUSED_PAD src0_sel:BYTE_0 src1_sel:DWORD
	v_lshrrev_b16_e32 v71, 9, v16
	v_mul_lo_u16_e32 v16, 9, v71
	v_sub_u16_e32 v72, v38, v16
	v_lshlrev_b32_sdwa v20, v2, v72 dst_sel:DWORD dst_unused:UNUSED_PAD src0_sel:DWORD src1_sel:BYTE_0
	v_mul_u32_u24_sdwa v16, v39, s0 dst_sel:DWORD dst_unused:UNUSED_PAD src0_sel:WORD_0 src1_sel:DWORD
	s_waitcnt lgkmcnt(0)
	s_barrier
	v_lshrrev_b32_e32 v73, 19, v16
	global_load_dwordx4 v[16:19], v20, s[8:9] offset:96
	v_mul_lo_u16_e32 v21, 9, v73
	v_sub_u16_e32 v74, v39, v21
	v_lshlrev_b32_e32 v21, 5, v74
	global_load_dwordx4 v[30:33], v21, s[8:9] offset:96
	global_load_dwordx4 v[41:44], v20, s[8:9] offset:112
	v_mul_u32_u24_sdwa v20, v40, s0 dst_sel:DWORD dst_unused:UNUSED_PAD src0_sel:WORD_0 src1_sel:DWORD
	v_lshrrev_b32_e32 v75, 19, v20
	v_mul_lo_u16_e32 v20, 9, v75
	v_sub_u16_e32 v76, v40, v20
	v_lshlrev_b32_e32 v20, 5, v76
	global_load_dwordx4 v[45:48], v20, s[8:9] offset:96
	global_load_dwordx4 v[49:52], v21, s[8:9] offset:112
	;; [unrolled: 1-line block ×3, first 2 shown]
	ds_read2_b64 v[57:60], v25 offset0:9 offset1:252
	s_movk_i32 s0, 0x2f69
	s_waitcnt vmcnt(5) lgkmcnt(0)
	v_mul_f64 v[34:35], v[57:58], v[18:19]
	v_mul_f64 v[67:68], v[4:5], v[18:19]
	ds_read2_b64 v[18:21], v26 offset0:7 offset1:250
	s_waitcnt vmcnt(4)
	v_mul_f64 v[69:70], v[59:60], v[32:33]
	v_mul_f64 v[32:33], v[6:7], v[32:33]
	v_fma_f64 v[34:35], v[4:5], v[16:17], -v[34:35]
	v_fma_f64 v[16:17], v[57:58], v[16:17], v[67:68]
	s_waitcnt vmcnt(3) lgkmcnt(0)
	v_mul_f64 v[57:58], v[20:21], v[43:44]
	v_mul_f64 v[43:44], v[10:11], v[43:44]
	v_fma_f64 v[67:68], v[6:7], v[30:31], -v[69:70]
	ds_read2_b64 v[4:7], v28 offset0:5 offset1:248
	v_fma_f64 v[30:31], v[59:60], v[30:31], v[32:33]
	s_waitcnt vmcnt(2)
	v_mul_f64 v[32:33], v[18:19], v[47:48]
	v_fma_f64 v[10:11], v[10:11], v[41:42], -v[57:58]
	v_fma_f64 v[20:21], v[20:21], v[41:42], v[43:44]
	v_mul_f64 v[41:42], v[8:9], v[47:48]
	s_waitcnt vmcnt(1) lgkmcnt(0)
	v_mul_f64 v[43:44], v[4:5], v[51:52]
	v_mul_f64 v[47:48], v[12:13], v[51:52]
	s_waitcnt vmcnt(0)
	v_mul_f64 v[51:52], v[6:7], v[55:56]
	v_fma_f64 v[32:33], v[8:9], v[45:46], -v[32:33]
	v_mul_f64 v[8:9], v[14:15], v[55:56]
	v_add_f64 v[55:56], v[34:35], v[10:11]
	v_fma_f64 v[18:19], v[18:19], v[45:46], v[41:42]
	v_fma_f64 v[41:42], v[12:13], v[49:50], -v[43:44]
	v_fma_f64 v[43:44], v[4:5], v[49:50], v[47:48]
	v_fma_f64 v[45:46], v[14:15], v[53:54], -v[51:52]
	v_add_f64 v[4:5], v[61:62], v[34:35]
	v_fma_f64 v[47:48], v[6:7], v[53:54], v[8:9]
	v_fma_f64 v[6:7], v[55:56], -0.5, v[61:62]
	v_add_f64 v[8:9], v[16:17], -v[20:21]
	v_add_f64 v[55:56], v[63:64], v[67:68]
	v_add_f64 v[12:13], v[67:68], v[41:42]
	v_add_f64 v[57:58], v[30:31], -v[43:44]
	v_add_f64 v[59:60], v[32:33], v[45:46]
	v_add_f64 v[4:5], v[4:5], v[10:11]
	v_mul_u32_u24_e32 v14, 0xd8, v71
	v_lshlrev_b32_sdwa v15, v3, v72 dst_sel:DWORD dst_unused:UNUSED_PAD src0_sel:DWORD src1_sel:BYTE_0
	v_fma_f64 v[53:54], v[8:9], s[4:5], v[6:7]
	v_fma_f64 v[6:7], v[8:9], s[6:7], v[6:7]
	v_fma_f64 v[12:13], v[12:13], -0.5, v[63:64]
	v_add3_u32 v69, 0, v14, v15
	ds_read_b64 v[14:15], v24
	ds_read_b64 v[49:50], v0
	;; [unrolled: 1-line block ×3, first 2 shown]
	s_waitcnt lgkmcnt(0)
	s_barrier
	ds_write2_b64 v69, v[4:5], v[53:54] offset1:9
	v_add_f64 v[4:5], v[55:56], v[41:42]
	v_fma_f64 v[8:9], v[57:58], s[4:5], v[12:13]
	v_fma_f64 v[53:54], v[59:60], -0.5, v[65:66]
	v_add_f64 v[59:60], v[18:19], -v[47:48]
	ds_write_b64 v69, v[6:7] offset:144
	v_fma_f64 v[6:7], v[57:58], s[6:7], v[12:13]
	v_add_f64 v[55:56], v[65:66], v[32:33]
	v_mul_u32_u24_e32 v61, 0xd8, v73
	v_lshlrev_b32_e32 v12, 3, v74
	v_add3_u32 v57, 0, v61, v12
	v_add_f64 v[12:13], v[14:15], v[16:17]
	v_add_f64 v[16:17], v[16:17], v[20:21]
	ds_write2_b64 v57, v[4:5], v[8:9] offset1:9
	v_fma_f64 v[8:9], v[59:60], s[4:5], v[53:54]
	ds_write_b64 v57, v[6:7] offset:144
	v_fma_f64 v[6:7], v[59:60], s[6:7], v[53:54]
	v_mul_u32_u24_e32 v53, 0xd8, v75
	v_lshlrev_b32_e32 v54, 3, v76
	v_add3_u32 v58, 0, v53, v54
	v_add_f64 v[53:54], v[30:31], v[43:44]
	v_add_f64 v[4:5], v[55:56], v[45:46]
	;; [unrolled: 1-line block ×3, first 2 shown]
	v_fma_f64 v[16:17], v[16:17], -0.5, v[14:15]
	v_add_f64 v[34:35], v[34:35], -v[10:11]
	v_add_f64 v[30:31], v[49:50], v[30:31]
	v_add_f64 v[41:42], v[67:68], -v[41:42]
	v_add_f64 v[18:19], v[51:52], v[18:19]
	v_fma_f64 v[49:50], v[53:54], -0.5, v[49:50]
	v_add_f64 v[32:33], v[32:33], -v[45:46]
	v_fma_f64 v[51:52], v[55:56], -0.5, v[51:52]
	v_add_f64 v[20:21], v[12:13], v[20:21]
	v_fma_f64 v[45:46], v[34:35], s[6:7], v[16:17]
	v_fma_f64 v[16:17], v[34:35], s[4:5], v[16:17]
	v_add_f64 v[30:31], v[30:31], v[43:44]
	v_add_f64 v[18:19], v[18:19], v[47:48]
	v_fma_f64 v[34:35], v[41:42], s[6:7], v[49:50]
	v_fma_f64 v[41:42], v[41:42], s[4:5], v[49:50]
	;; [unrolled: 1-line block ×4, first 2 shown]
	ds_write2_b64 v58, v[4:5], v[8:9] offset1:9
	ds_write_b64 v58, v[6:7] offset:144
	s_waitcnt lgkmcnt(0)
	s_barrier
	ds_read_b64 v[61:62], v24
	ds_read_b64 v[63:64], v0
	;; [unrolled: 1-line block ×3, first 2 shown]
	ds_read2_b64 v[4:7], v25 offset0:9 offset1:252
	ds_read2_b64 v[8:11], v26 offset0:7 offset1:250
	;; [unrolled: 1-line block ×3, first 2 shown]
	s_waitcnt lgkmcnt(0)
	s_barrier
	ds_write2_b64 v69, v[20:21], v[45:46] offset1:9
	ds_write_b64 v69, v[16:17] offset:144
	ds_write2_b64 v57, v[30:31], v[34:35] offset1:9
	ds_write_b64 v57, v[41:42] offset:144
	;; [unrolled: 2-line block ×3, first 2 shown]
	v_mov_b32_e32 v16, 19
	v_mul_lo_u16_sdwa v16, v38, v16 dst_sel:DWORD dst_unused:UNUSED_PAD src0_sel:BYTE_0 src1_sel:DWORD
	v_lshrrev_b16_e32 v71, 9, v16
	v_mul_lo_u16_e32 v16, 27, v71
	v_sub_u16_e32 v72, v38, v16
	v_mul_u32_u24_sdwa v16, v39, s0 dst_sel:DWORD dst_unused:UNUSED_PAD src0_sel:WORD_0 src1_sel:DWORD
	v_sub_u16_sdwa v17, v39, v16 dst_sel:DWORD dst_unused:UNUSED_PAD src0_sel:DWORD src1_sel:WORD_1
	v_lshrrev_b16_e32 v17, 1, v17
	v_lshlrev_b32_sdwa v20, v2, v72 dst_sel:DWORD dst_unused:UNUSED_PAD src0_sel:DWORD src1_sel:BYTE_0
	v_add_u16_sdwa v16, v17, v16 dst_sel:DWORD dst_unused:UNUSED_PAD src0_sel:DWORD src1_sel:WORD_1
	s_waitcnt lgkmcnt(0)
	s_barrier
	v_lshrrev_b16_e32 v73, 4, v16
	global_load_dwordx4 v[16:19], v20, s[8:9] offset:384
	v_mul_lo_u16_e32 v21, 27, v73
	v_sub_u16_e32 v74, v39, v21
	v_lshlrev_b32_e32 v21, 5, v74
	global_load_dwordx4 v[30:33], v21, s[8:9] offset:384
	global_load_dwordx4 v[41:44], v20, s[8:9] offset:400
	v_mul_u32_u24_sdwa v20, v40, s0 dst_sel:DWORD dst_unused:UNUSED_PAD src0_sel:WORD_0 src1_sel:DWORD
	v_sub_u16_sdwa v34, v40, v20 dst_sel:DWORD dst_unused:UNUSED_PAD src0_sel:DWORD src1_sel:WORD_1
	v_lshrrev_b16_e32 v34, 1, v34
	v_add_u16_sdwa v20, v34, v20 dst_sel:DWORD dst_unused:UNUSED_PAD src0_sel:DWORD src1_sel:WORD_1
	v_lshrrev_b16_e32 v75, 4, v20
	v_mul_lo_u16_e32 v20, 27, v75
	v_sub_u16_e32 v76, v40, v20
	v_lshlrev_b32_e32 v20, 5, v76
	global_load_dwordx4 v[45:48], v20, s[8:9] offset:384
	global_load_dwordx4 v[49:52], v21, s[8:9] offset:400
	;; [unrolled: 1-line block ×3, first 2 shown]
	ds_read2_b64 v[57:60], v25 offset0:9 offset1:252
	s_movk_i32 s0, 0xcb
	s_waitcnt vmcnt(5) lgkmcnt(0)
	v_mul_f64 v[34:35], v[57:58], v[18:19]
	v_mul_f64 v[67:68], v[4:5], v[18:19]
	ds_read2_b64 v[18:21], v26 offset0:7 offset1:250
	s_waitcnt vmcnt(4)
	v_mul_f64 v[69:70], v[59:60], v[32:33]
	v_mul_f64 v[32:33], v[6:7], v[32:33]
	v_fma_f64 v[34:35], v[4:5], v[16:17], -v[34:35]
	v_fma_f64 v[16:17], v[57:58], v[16:17], v[67:68]
	s_waitcnt vmcnt(3) lgkmcnt(0)
	v_mul_f64 v[57:58], v[20:21], v[43:44]
	v_mul_f64 v[43:44], v[10:11], v[43:44]
	v_fma_f64 v[67:68], v[6:7], v[30:31], -v[69:70]
	ds_read2_b64 v[4:7], v28 offset0:5 offset1:248
	v_fma_f64 v[30:31], v[59:60], v[30:31], v[32:33]
	s_waitcnt vmcnt(2)
	v_mul_f64 v[32:33], v[18:19], v[47:48]
	v_fma_f64 v[10:11], v[10:11], v[41:42], -v[57:58]
	v_fma_f64 v[20:21], v[20:21], v[41:42], v[43:44]
	v_mul_f64 v[41:42], v[8:9], v[47:48]
	s_waitcnt vmcnt(1) lgkmcnt(0)
	v_mul_f64 v[43:44], v[4:5], v[51:52]
	v_mul_f64 v[47:48], v[12:13], v[51:52]
	s_waitcnt vmcnt(0)
	v_mul_f64 v[51:52], v[6:7], v[55:56]
	v_fma_f64 v[32:33], v[8:9], v[45:46], -v[32:33]
	v_mul_f64 v[8:9], v[14:15], v[55:56]
	v_add_f64 v[55:56], v[34:35], v[10:11]
	v_fma_f64 v[18:19], v[18:19], v[45:46], v[41:42]
	v_fma_f64 v[41:42], v[12:13], v[49:50], -v[43:44]
	v_fma_f64 v[43:44], v[4:5], v[49:50], v[47:48]
	v_fma_f64 v[45:46], v[14:15], v[53:54], -v[51:52]
	v_add_f64 v[4:5], v[61:62], v[34:35]
	v_fma_f64 v[47:48], v[6:7], v[53:54], v[8:9]
	v_fma_f64 v[6:7], v[55:56], -0.5, v[61:62]
	v_add_f64 v[8:9], v[16:17], -v[20:21]
	v_add_f64 v[55:56], v[63:64], v[67:68]
	v_add_f64 v[12:13], v[67:68], v[41:42]
	v_add_f64 v[57:58], v[30:31], -v[43:44]
	v_add_f64 v[59:60], v[32:33], v[45:46]
	v_add_f64 v[4:5], v[4:5], v[10:11]
	v_mul_u32_u24_e32 v14, 0x288, v71
	v_lshlrev_b32_sdwa v15, v3, v72 dst_sel:DWORD dst_unused:UNUSED_PAD src0_sel:DWORD src1_sel:BYTE_0
	v_fma_f64 v[53:54], v[8:9], s[4:5], v[6:7]
	v_fma_f64 v[6:7], v[8:9], s[6:7], v[6:7]
	v_fma_f64 v[12:13], v[12:13], -0.5, v[63:64]
	v_add3_u32 v69, 0, v14, v15
	ds_read_b64 v[14:15], v24
	ds_read_b64 v[49:50], v0
	;; [unrolled: 1-line block ×3, first 2 shown]
	s_waitcnt lgkmcnt(0)
	s_barrier
	ds_write2_b64 v69, v[4:5], v[53:54] offset1:27
	v_add_f64 v[4:5], v[55:56], v[41:42]
	v_fma_f64 v[8:9], v[57:58], s[4:5], v[12:13]
	v_fma_f64 v[53:54], v[59:60], -0.5, v[65:66]
	v_add_f64 v[59:60], v[18:19], -v[47:48]
	ds_write_b64 v69, v[6:7] offset:432
	v_fma_f64 v[6:7], v[57:58], s[6:7], v[12:13]
	v_add_f64 v[55:56], v[65:66], v[32:33]
	v_mul_u32_u24_e32 v61, 0x288, v73
	v_lshlrev_b32_e32 v12, 3, v74
	v_add3_u32 v57, 0, v61, v12
	v_add_f64 v[12:13], v[14:15], v[16:17]
	v_add_f64 v[16:17], v[16:17], v[20:21]
	ds_write2_b64 v57, v[4:5], v[8:9] offset1:27
	v_fma_f64 v[8:9], v[59:60], s[4:5], v[53:54]
	ds_write_b64 v57, v[6:7] offset:432
	v_fma_f64 v[6:7], v[59:60], s[6:7], v[53:54]
	v_mul_u32_u24_e32 v53, 0x288, v75
	v_lshlrev_b32_e32 v54, 3, v76
	v_add3_u32 v58, 0, v53, v54
	v_add_f64 v[53:54], v[30:31], v[43:44]
	v_add_f64 v[4:5], v[55:56], v[45:46]
	;; [unrolled: 1-line block ×3, first 2 shown]
	v_fma_f64 v[16:17], v[16:17], -0.5, v[14:15]
	v_add_f64 v[34:35], v[34:35], -v[10:11]
	v_add_f64 v[30:31], v[49:50], v[30:31]
	v_add_f64 v[41:42], v[67:68], -v[41:42]
	v_add_f64 v[18:19], v[51:52], v[18:19]
	v_fma_f64 v[49:50], v[53:54], -0.5, v[49:50]
	v_add_f64 v[32:33], v[32:33], -v[45:46]
	v_fma_f64 v[51:52], v[55:56], -0.5, v[51:52]
	v_add_f64 v[20:21], v[12:13], v[20:21]
	v_fma_f64 v[45:46], v[34:35], s[6:7], v[16:17]
	v_fma_f64 v[16:17], v[34:35], s[4:5], v[16:17]
	v_add_f64 v[30:31], v[30:31], v[43:44]
	v_add_f64 v[18:19], v[18:19], v[47:48]
	v_fma_f64 v[34:35], v[41:42], s[6:7], v[49:50]
	v_fma_f64 v[41:42], v[41:42], s[4:5], v[49:50]
	v_fma_f64 v[43:44], v[32:33], s[6:7], v[51:52]
	v_fma_f64 v[32:33], v[32:33], s[4:5], v[51:52]
	ds_write2_b64 v58, v[4:5], v[8:9] offset1:27
	ds_write_b64 v58, v[6:7] offset:432
	s_waitcnt lgkmcnt(0)
	s_barrier
	ds_read_b64 v[61:62], v24
	ds_read_b64 v[63:64], v0
	;; [unrolled: 1-line block ×3, first 2 shown]
	ds_read2_b64 v[4:7], v25 offset0:9 offset1:252
	ds_read2_b64 v[8:11], v26 offset0:7 offset1:250
	;; [unrolled: 1-line block ×3, first 2 shown]
	s_waitcnt lgkmcnt(0)
	s_barrier
	ds_write2_b64 v69, v[20:21], v[45:46] offset1:27
	ds_write_b64 v69, v[16:17] offset:432
	ds_write2_b64 v57, v[30:31], v[34:35] offset1:27
	ds_write_b64 v57, v[41:42] offset:432
	;; [unrolled: 2-line block ×3, first 2 shown]
	v_mul_lo_u16_sdwa v16, v38, s0 dst_sel:DWORD dst_unused:UNUSED_PAD src0_sel:BYTE_0 src1_sel:DWORD
	v_lshrrev_b16_e32 v73, 14, v16
	v_mul_lo_u16_e32 v16, 0x51, v73
	s_movk_i32 s0, 0x6523
	v_sub_u16_e32 v74, v38, v16
	v_mul_u32_u24_sdwa v16, v39, s0 dst_sel:DWORD dst_unused:UNUSED_PAD src0_sel:WORD_0 src1_sel:DWORD
	v_lshrrev_b32_e32 v75, 21, v16
	v_mul_lo_u16_e32 v16, 0x51, v75
	v_lshlrev_b32_sdwa v2, v2, v74 dst_sel:DWORD dst_unused:UNUSED_PAD src0_sel:DWORD src1_sel:BYTE_0
	v_sub_u16_e32 v76, v39, v16
	s_waitcnt lgkmcnt(0)
	s_barrier
	global_load_dwordx4 v[16:19], v2, s[8:9] offset:1248
	v_lshlrev_b32_e32 v20, 5, v76
	global_load_dwordx4 v[30:33], v20, s[8:9] offset:1248
	global_load_dwordx4 v[41:44], v2, s[8:9] offset:1264
	v_mul_u32_u24_sdwa v2, v40, s0 dst_sel:DWORD dst_unused:UNUSED_PAD src0_sel:WORD_0 src1_sel:DWORD
	v_lshrrev_b32_e32 v77, 21, v2
	v_mul_lo_u16_e32 v2, 0x51, v77
	v_sub_u16_e32 v78, v40, v2
	v_lshlrev_b32_e32 v2, 5, v78
	global_load_dwordx4 v[45:48], v2, s[8:9] offset:1248
	global_load_dwordx4 v[49:52], v20, s[8:9] offset:1264
	;; [unrolled: 1-line block ×3, first 2 shown]
	ds_read2_b64 v[57:60], v25 offset0:9 offset1:252
	s_waitcnt vmcnt(5) lgkmcnt(0)
	v_mul_f64 v[34:35], v[57:58], v[18:19]
	v_mul_f64 v[67:68], v[4:5], v[18:19]
	s_waitcnt vmcnt(4)
	v_mul_f64 v[69:70], v[59:60], v[32:33]
	ds_read2_b64 v[18:21], v26 offset0:7 offset1:250
	v_mul_f64 v[32:33], v[6:7], v[32:33]
	s_waitcnt vmcnt(3) lgkmcnt(0)
	v_mul_f64 v[71:72], v[20:21], v[43:44]
	v_fma_f64 v[34:35], v[4:5], v[16:17], -v[34:35]
	v_fma_f64 v[16:17], v[57:58], v[16:17], v[67:68]
	v_fma_f64 v[57:58], v[6:7], v[30:31], -v[69:70]
	ds_read2_b64 v[4:7], v28 offset0:5 offset1:248
	v_mul_f64 v[43:44], v[10:11], v[43:44]
	v_fma_f64 v[30:31], v[59:60], v[30:31], v[32:33]
	s_waitcnt vmcnt(2)
	v_mul_f64 v[32:33], v[18:19], v[47:48]
	v_fma_f64 v[10:11], v[10:11], v[41:42], -v[71:72]
	s_waitcnt vmcnt(1) lgkmcnt(0)
	v_mul_f64 v[59:60], v[4:5], v[51:52]
	v_mul_f64 v[47:48], v[8:9], v[47:48]
	;; [unrolled: 1-line block ×3, first 2 shown]
	s_waitcnt vmcnt(0)
	v_mul_f64 v[67:68], v[6:7], v[55:56]
	v_fma_f64 v[20:21], v[20:21], v[41:42], v[43:44]
	v_mul_f64 v[41:42], v[14:15], v[55:56]
	v_fma_f64 v[8:9], v[8:9], v[45:46], -v[32:33]
	v_add_f64 v[32:33], v[34:35], v[10:11]
	v_fma_f64 v[12:13], v[12:13], v[49:50], -v[59:60]
	v_fma_f64 v[18:19], v[18:19], v[45:46], v[47:48]
	v_fma_f64 v[43:44], v[4:5], v[49:50], v[51:52]
	v_fma_f64 v[14:15], v[14:15], v[53:54], -v[67:68]
	v_add_f64 v[4:5], v[61:62], v[34:35]
	v_fma_f64 v[41:42], v[6:7], v[53:54], v[41:42]
	v_lshlrev_b32_sdwa v45, v3, v74 dst_sel:DWORD dst_unused:UNUSED_PAD src0_sel:DWORD src1_sel:BYTE_0
	v_fma_f64 v[2:3], v[32:33], -0.5, v[61:62]
	v_add_f64 v[6:7], v[16:17], -v[20:21]
	v_add_f64 v[32:33], v[57:58], v[12:13]
	v_add_f64 v[55:56], v[30:31], -v[43:44]
	v_add_f64 v[59:60], v[8:9], v[14:15]
	v_add_f64 v[4:5], v[4:5], v[10:11]
	;; [unrolled: 1-line block ×3, first 2 shown]
	v_mul_u32_u24_e32 v46, 0x798, v73
	v_add3_u32 v67, 0, v46, v45
	v_fma_f64 v[51:52], v[6:7], s[4:5], v[2:3]
	v_fma_f64 v[32:33], v[32:33], -0.5, v[63:64]
	v_fma_f64 v[2:3], v[6:7], s[6:7], v[2:3]
	ds_read_b64 v[45:46], v24
	ds_read_b64 v[47:48], v0
	;; [unrolled: 1-line block ×3, first 2 shown]
	s_waitcnt lgkmcnt(0)
	s_barrier
	v_mul_u32_u24_e32 v61, 0x798, v75
	ds_write2_b64 v67, v[4:5], v[51:52] offset1:81
	v_fma_f64 v[51:52], v[59:60], -0.5, v[65:66]
	v_add_f64 v[59:60], v[18:19], -v[41:42]
	ds_write_b64 v67, v[2:3] offset:1296
	v_fma_f64 v[2:3], v[55:56], s[6:7], v[32:33]
	v_add_f64 v[4:5], v[53:54], v[12:13]
	v_fma_f64 v[6:7], v[55:56], s[4:5], v[32:33]
	v_add_f64 v[53:54], v[65:66], v[8:9]
	v_lshlrev_b32_e32 v32, 3, v76
	v_add3_u32 v55, 0, v61, v32
	v_add_f64 v[32:33], v[45:46], v[16:17]
	v_add_f64 v[16:17], v[16:17], v[20:21]
	ds_write_b64 v55, v[2:3] offset:1296
	v_fma_f64 v[2:3], v[59:60], s[6:7], v[51:52]
	ds_write2_b64 v55, v[4:5], v[6:7] offset1:81
	v_add_f64 v[4:5], v[53:54], v[14:15]
	v_fma_f64 v[6:7], v[59:60], s[4:5], v[51:52]
	v_mul_u32_u24_e32 v51, 0x798, v77
	v_lshlrev_b32_e32 v52, 3, v78
	v_add3_u32 v51, 0, v51, v52
	v_add_f64 v[10:11], v[34:35], -v[10:11]
	ds_write_b64 v51, v[2:3] offset:1296
	v_add_f64 v[2:3], v[30:31], v[43:44]
	v_add_f64 v[20:21], v[32:33], v[20:21]
	ds_write2_b64 v51, v[4:5], v[6:7] offset1:81
	v_fma_f64 v[6:7], v[16:17], -0.5, v[45:46]
	v_add_f64 v[16:17], v[18:19], v[41:42]
	v_add_f64 v[30:31], v[47:48], v[30:31]
	v_add_f64 v[12:13], v[57:58], -v[12:13]
	v_add_f64 v[18:19], v[49:50], v[18:19]
	v_fma_f64 v[32:33], v[2:3], -0.5, v[47:48]
	v_add_f64 v[14:15], v[8:9], -v[14:15]
	s_waitcnt lgkmcnt(0)
	v_fma_f64 v[45:46], v[10:11], s[6:7], v[6:7]
	v_fma_f64 v[16:17], v[16:17], -0.5, v[49:50]
	v_fma_f64 v[10:11], v[10:11], s[4:5], v[6:7]
	v_add_f64 v[30:31], v[30:31], v[43:44]
	s_barrier
	v_fma_f64 v[43:44], v[12:13], s[6:7], v[32:33]
	v_fma_f64 v[12:13], v[12:13], s[4:5], v[32:33]
	v_add_f64 v[32:33], v[18:19], v[41:42]
	v_fma_f64 v[41:42], v[14:15], s[6:7], v[16:17]
	v_fma_f64 v[14:15], v[14:15], s[4:5], v[16:17]
	ds_read_b64 v[34:35], v24
	ds_read_b64 v[61:62], v0
	;; [unrolled: 1-line block ×3, first 2 shown]
	ds_read2_b64 v[2:5], v25 offset0:9 offset1:252
	ds_read2_b64 v[6:9], v26 offset0:7 offset1:250
	;; [unrolled: 1-line block ×3, first 2 shown]
	s_waitcnt lgkmcnt(0)
	s_barrier
	ds_write2_b64 v67, v[20:21], v[45:46] offset1:81
	ds_write_b64 v67, v[10:11] offset:1296
	ds_write2_b64 v55, v[30:31], v[43:44] offset1:81
	ds_write_b64 v55, v[12:13] offset:1296
	;; [unrolled: 2-line block ×3, first 2 shown]
	v_lshlrev_b32_e32 v14, 1, v38
	v_mov_b32_e32 v15, 0
	v_lshlrev_b64 v[10:11], 4, v[14:15]
	v_mov_b32_e32 v13, s9
	v_add_co_u32_e64 v12, s[0:1], s8, v10
	v_addc_co_u32_e64 v13, s[0:1], v13, v11, s[0:1]
	s_movk_i32 s0, 0xdb3
	v_mul_u32_u24_sdwa v10, v40, s0 dst_sel:DWORD dst_unused:UNUSED_PAD src0_sel:WORD_0 src1_sel:DWORD
	v_sub_u16_sdwa v11, v40, v10 dst_sel:DWORD dst_unused:UNUSED_PAD src0_sel:DWORD src1_sel:WORD_1
	s_waitcnt lgkmcnt(0)
	s_barrier
	global_load_dwordx4 v[30:33], v[12:13], off offset:3840
	global_load_dwordx4 v[41:44], v[12:13], off offset:3856
	v_lshrrev_b16_e32 v11, 1, v11
	v_add_u16_sdwa v10, v11, v10 dst_sel:DWORD dst_unused:UNUSED_PAD src0_sel:DWORD src1_sel:WORD_1
	v_lshrrev_b16_e32 v10, 7, v10
	v_mul_lo_u16_e32 v10, 0xf3, v10
	v_sub_u16_e32 v14, v40, v10
	v_lshlrev_b32_e32 v10, 5, v14
	global_load_dwordx4 v[45:48], v10, s[8:9] offset:3840
	global_load_dwordx4 v[49:52], v10, s[8:9] offset:3856
	ds_read2_b64 v[53:56], v25 offset0:9 offset1:252
	ds_read2_b64 v[57:60], v26 offset0:7 offset1:250
	v_lshl_add_u32 v14, v14, 3, 0
	s_waitcnt vmcnt(3) lgkmcnt(1)
	v_mul_f64 v[10:11], v[53:54], v[32:33]
	v_mul_f64 v[20:21], v[55:56], v[32:33]
	;; [unrolled: 1-line block ×4, first 2 shown]
	s_waitcnt vmcnt(2) lgkmcnt(0)
	v_mul_f64 v[67:68], v[59:60], v[43:44]
	s_waitcnt vmcnt(1)
	v_mul_f64 v[69:70], v[57:58], v[47:48]
	v_fma_f64 v[10:11], v[2:3], v[30:31], -v[10:11]
	v_fma_f64 v[71:72], v[4:5], v[30:31], -v[20:21]
	ds_read2_b64 v[2:5], v28 offset0:5 offset1:248
	v_fma_f64 v[53:54], v[53:54], v[30:31], v[65:66]
	v_fma_f64 v[20:21], v[55:56], v[30:31], v[32:33]
	v_fma_f64 v[30:31], v[8:9], v[41:42], -v[67:68]
	v_mul_f64 v[32:33], v[6:7], v[47:48]
	v_fma_f64 v[47:48], v[6:7], v[45:46], -v[69:70]
	v_mul_f64 v[6:7], v[8:9], v[43:44]
	s_waitcnt lgkmcnt(0)
	v_mul_f64 v[8:9], v[2:3], v[43:44]
	v_mul_f64 v[43:44], v[16:17], v[43:44]
	s_waitcnt vmcnt(0)
	v_mul_f64 v[55:56], v[4:5], v[51:52]
	v_mul_f64 v[51:52], v[18:19], v[51:52]
	v_add_f64 v[65:66], v[10:11], v[30:31]
	v_fma_f64 v[32:33], v[57:58], v[45:46], v[32:33]
	v_add_f64 v[67:68], v[34:35], v[10:11]
	v_fma_f64 v[45:46], v[59:60], v[41:42], v[6:7]
	v_fma_f64 v[8:9], v[16:17], v[41:42], -v[8:9]
	v_fma_f64 v[2:3], v[2:3], v[41:42], v[43:44]
	v_fma_f64 v[41:42], v[18:19], v[49:50], -v[55:56]
	v_fma_f64 v[43:44], v[4:5], v[49:50], v[51:52]
	v_fma_f64 v[4:5], v[65:66], -0.5, v[34:35]
	v_add_f64 v[55:56], v[61:62], v[71:72]
	v_add_f64 v[6:7], v[67:68], v[30:31]
	v_add_f64 v[16:17], v[53:54], -v[45:46]
	v_add_f64 v[18:19], v[71:72], v[8:9]
	ds_read_b64 v[34:35], v24
	v_add_f64 v[57:58], v[47:48], v[41:42]
	ds_read_b64 v[49:50], v0
	ds_read_b64 v[51:52], v1
	v_add_u32_e32 v65, 0xf00, v24
	v_add_f64 v[55:56], v[55:56], v[8:9]
	s_waitcnt lgkmcnt(0)
	v_fma_f64 v[59:60], v[16:17], s[4:5], v[4:5]
	v_fma_f64 v[4:5], v[16:17], s[6:7], v[4:5]
	v_fma_f64 v[16:17], v[18:19], -0.5, v[61:62]
	v_add_f64 v[18:19], v[20:21], -v[2:3]
	v_fma_f64 v[57:58], v[57:58], -0.5, v[63:64]
	v_add_f64 v[61:62], v[63:64], v[47:48]
	v_add_f64 v[63:64], v[32:33], -v[43:44]
	s_barrier
	ds_write2_b64 v24, v[6:7], v[59:60] offset1:243
	ds_write2_b64 v65, v[4:5], v[55:56] offset0:6 offset1:249
	v_fma_f64 v[6:7], v[18:19], s[4:5], v[16:17]
	v_fma_f64 v[16:17], v[18:19], s[6:7], v[16:17]
	v_add_f64 v[59:60], v[49:50], v[20:21]
	v_fma_f64 v[18:19], v[63:64], s[4:5], v[57:58]
	v_fma_f64 v[55:56], v[63:64], s[6:7], v[57:58]
	v_add_f64 v[57:58], v[53:54], v[45:46]
	v_add_f64 v[4:5], v[61:62], v[41:42]
	v_add_u32_e32 v61, 0x1e00, v24
	v_add_f64 v[30:31], v[10:11], -v[30:31]
	ds_write2_b64 v61, v[6:7], v[16:17] offset0:12 offset1:255
	v_add_f64 v[10:11], v[32:33], v[43:44]
	v_add_f64 v[32:33], v[51:52], v[32:33]
	ds_write_b64 v14, v[55:56] offset:15552
	v_fma_f64 v[55:56], v[57:58], -0.5, v[34:35]
	v_add_f64 v[57:58], v[59:60], v[2:3]
	v_add_f64 v[2:3], v[20:21], v[2:3]
	v_add_f64 v[59:60], v[71:72], -v[8:9]
	v_add_f64 v[34:35], v[34:35], v[53:54]
	v_fma_f64 v[51:52], v[10:11], -0.5, v[51:52]
	v_add_f64 v[41:42], v[47:48], -v[41:42]
	v_add_u32_e32 v62, 0x2d80, v14
	v_fma_f64 v[47:48], v[30:31], s[4:5], v[55:56]
	ds_write2_b64 v62, v[4:5], v[18:19] offset0:2 offset1:245
	v_fma_f64 v[49:50], v[2:3], -0.5, v[49:50]
	s_waitcnt lgkmcnt(0)
	s_barrier
	ds_read_b64 v[16:17], v1
	ds_read_b64 v[18:19], v0
	;; [unrolled: 1-line block ×3, first 2 shown]
	ds_read2_b64 v[4:7], v25 offset0:9 offset1:252
	v_add_f64 v[34:35], v[34:35], v[45:46]
	v_fma_f64 v[30:31], v[30:31], s[6:7], v[55:56]
	v_fma_f64 v[53:54], v[59:60], s[6:7], v[49:50]
	;; [unrolled: 1-line block ×3, first 2 shown]
	ds_read2_b64 v[0:3], v26 offset0:7 offset1:250
	ds_read2_b64 v[8:11], v28 offset0:5 offset1:248
	v_add_f64 v[32:33], v[32:33], v[43:44]
	v_fma_f64 v[43:44], v[41:42], s[6:7], v[51:52]
	v_fma_f64 v[41:42], v[41:42], s[4:5], v[51:52]
	s_waitcnt lgkmcnt(0)
	s_barrier
	ds_write2_b64 v65, v[47:48], v[57:58] offset0:6 offset1:249
	ds_write2_b64 v61, v[53:54], v[49:50] offset0:12 offset1:255
	ds_write2_b64 v24, v[34:35], v[30:31] offset1:243
	ds_write2_b64 v62, v[32:33], v[43:44] offset0:2 offset1:245
	ds_write_b64 v14, v[41:42] offset:15552
	s_waitcnt lgkmcnt(0)
	s_barrier
	s_and_saveexec_b64 s[0:1], vcc
	s_cbranch_execz .LBB0_15
; %bb.14:
	v_lshlrev_b32_e32 v14, 1, v40
	v_lshlrev_b64 v[30:31], 4, v[14:15]
	v_mov_b32_e32 v32, s9
	v_add_co_u32_e32 v53, vcc, s8, v30
	v_addc_co_u32_e32 v54, vcc, v32, v31, vcc
	v_lshlrev_b32_e32 v14, 1, v39
	v_add_co_u32_e32 v34, vcc, 0x2d60, v53
	v_lshlrev_b64 v[14:15], 4, v[14:15]
	v_addc_co_u32_e32 v35, vcc, 0, v54, vcc
	v_add_co_u32_e32 v14, vcc, s8, v14
	s_movk_i32 s0, 0x2d60
	v_addc_co_u32_e32 v15, vcc, v32, v15, vcc
	v_add_co_u32_e32 v47, vcc, s0, v14
	s_movk_i32 s1, 0x2000
	v_addc_co_u32_e32 v48, vcc, 0, v15, vcc
	v_add_co_u32_e32 v49, vcc, s1, v14
	v_addc_co_u32_e32 v50, vcc, 0, v15, vcc
	v_add_co_u32_e32 v14, vcc, s1, v12
	v_addc_co_u32_e32 v15, vcc, 0, v13, vcc
	global_load_dwordx4 v[30:33], v[14:15], off offset:3424
	v_add_co_u32_e32 v51, vcc, s0, v12
	v_addc_co_u32_e32 v52, vcc, 0, v13, vcc
	global_load_dwordx4 v[12:15], v[51:52], off offset:16
	global_load_dwordx4 v[39:42], v[49:50], off offset:3424
	;; [unrolled: 1-line block ×3, first 2 shown]
	v_add_co_u32_e32 v55, vcc, 0x2000, v53
	v_addc_co_u32_e32 v56, vcc, 0, v54, vcc
	global_load_dwordx4 v[47:50], v[55:56], off offset:3424
	global_load_dwordx4 v[51:54], v[34:35], off offset:16
	v_sub_u32_e32 v34, 0, v27
	v_sub_u32_e32 v35, 0, v29
	ds_read2_b64 v[55:58], v26 offset0:7 offset1:250
	ds_read2_b64 v[26:29], v28 offset0:5 offset1:248
	;; [unrolled: 1-line block ×3, first 2 shown]
	ds_read_b64 v[24:25], v24
	v_add_u32_e32 v23, v23, v35
	v_add_u32_e32 v71, v22, v34
	ds_read_b64 v[22:23], v23
	v_mad_u64_u32 v[63:64], s[0:1], s2, v38, 0
	s_waitcnt vmcnt(5) lgkmcnt(2)
	v_mul_f64 v[34:35], v[59:60], v[32:33]
	v_mul_f64 v[32:33], v[4:5], v[32:33]
	s_waitcnt vmcnt(4)
	v_mul_f64 v[65:66], v[57:58], v[14:15]
	v_mul_f64 v[14:15], v[2:3], v[14:15]
	s_waitcnt vmcnt(3)
	v_mul_f64 v[67:68], v[61:62], v[41:42]
	s_waitcnt vmcnt(2)
	v_mul_f64 v[69:70], v[26:27], v[45:46]
	v_mul_f64 v[41:42], v[6:7], v[41:42]
	v_fma_f64 v[4:5], v[4:5], v[30:31], -v[34:35]
	v_fma_f64 v[30:31], v[30:31], v[59:60], v[32:33]
	v_mul_f64 v[45:46], v[8:9], v[45:46]
	v_fma_f64 v[59:60], v[2:3], v[12:13], -v[65:66]
	v_fma_f64 v[57:58], v[12:13], v[57:58], v[14:15]
	ds_read_b64 v[14:15], v71
	s_waitcnt vmcnt(1)
	v_mul_f64 v[2:3], v[0:1], v[49:50]
	s_waitcnt vmcnt(0)
	v_mul_f64 v[12:13], v[10:11], v[53:54]
	v_mul_f64 v[32:33], v[55:56], v[49:50]
	;; [unrolled: 1-line block ×3, first 2 shown]
	v_fma_f64 v[6:7], v[6:7], v[39:40], -v[67:68]
	v_fma_f64 v[8:9], v[8:9], v[43:44], -v[69:70]
	v_fma_f64 v[39:40], v[39:40], v[61:62], v[41:42]
	v_fma_f64 v[26:27], v[43:44], v[26:27], v[45:46]
	;; [unrolled: 1-line block ×4, first 2 shown]
	v_fma_f64 v[0:1], v[0:1], v[47:48], -v[32:33]
	v_fma_f64 v[10:11], v[10:11], v[51:52], -v[34:35]
	v_add_f64 v[32:33], v[30:31], v[57:58]
	s_waitcnt lgkmcnt(2)
	v_add_f64 v[34:35], v[30:31], v[24:25]
	v_add_f64 v[43:44], v[30:31], -v[57:58]
	v_add_f64 v[30:31], v[6:7], -v[8:9]
	v_add_f64 v[49:50], v[6:7], v[8:9]
	v_add_f64 v[6:7], v[18:19], v[6:7]
	;; [unrolled: 1-line block ×3, first 2 shown]
	v_add_f64 v[28:29], v[4:5], -v[59:60]
	v_add_f64 v[41:42], v[4:5], v[59:60]
	v_add_f64 v[45:46], v[20:21], v[4:5]
	v_add_f64 v[4:5], v[39:40], v[26:27]
	s_waitcnt lgkmcnt(0)
	v_add_f64 v[47:48], v[39:40], v[14:15]
	v_add_f64 v[51:52], v[0:1], -v[10:11]
	v_add_f64 v[61:62], v[0:1], v[10:11]
	v_add_f64 v[67:68], v[16:17], v[0:1]
	;; [unrolled: 1-line block ×3, first 2 shown]
	v_fma_f64 v[8:9], v[53:54], -0.5, v[22:23]
	v_add_f64 v[39:40], v[39:40], -v[26:27]
	v_add_f64 v[55:56], v[2:3], v[22:23]
	v_fma_f64 v[32:33], v[32:33], -0.5, v[24:25]
	v_fma_f64 v[24:25], v[49:50], -0.5, v[18:19]
	;; [unrolled: 1-line block ×4, first 2 shown]
	v_add_f64 v[65:66], v[2:3], -v[12:13]
	v_add_f64 v[2:3], v[26:27], v[47:48]
	v_fma_f64 v[22:23], v[51:52], s[4:5], v[8:9]
	v_fma_f64 v[26:27], v[51:52], s[6:7], v[8:9]
	v_mov_b32_e32 v8, v64
	v_add_f64 v[6:7], v[12:13], v[55:56]
	v_fma_f64 v[47:48], v[61:62], -0.5, v[16:17]
	v_fma_f64 v[12:13], v[39:40], s[6:7], v[24:25]
	v_fma_f64 v[16:17], v[39:40], s[4:5], v[24:25]
	v_mad_u64_u32 v[39:40], s[0:1], s3, v38, v[8:9]
	v_add_f64 v[4:5], v[67:68], v[10:11]
	v_fma_f64 v[10:11], v[28:29], s[4:5], v[32:33]
	v_fma_f64 v[14:15], v[30:31], s[4:5], v[20:21]
	;; [unrolled: 1-line block ×6, first 2 shown]
	v_mov_b32_e32 v64, v39
	v_mov_b32_e32 v39, s13
	v_add_co_u32_e32 v43, vcc, s12, v36
	v_add_u32_e32 v41, 0x2d9, v38
	v_add_f64 v[34:35], v[34:35], v[57:58]
	v_add_f64 v[32:33], v[45:46], v[59:60]
	v_addc_co_u32_e32 v44, vcc, v39, v37, vcc
	v_mad_u64_u32 v[39:40], s[0:1], s2, v41, 0
	v_lshlrev_b64 v[36:37], 4, v[63:64]
	v_add_u32_e32 v45, 0x5b2, v38
	v_mad_u64_u32 v[40:41], s[0:1], s3, v41, v[40:41]
	v_add_co_u32_e32 v36, vcc, v43, v36
	v_addc_co_u32_e32 v37, vcc, v44, v37, vcc
	v_mad_u64_u32 v[41:42], s[0:1], s2, v45, 0
	global_store_dwordx4 v[36:37], v[32:35], off
	v_fma_f64 v[24:25], v[65:66], s[4:5], v[47:48]
	v_lshlrev_b64 v[32:33], 4, v[39:40]
	v_mov_b32_e32 v34, v42
	v_add_co_u32_e32 v32, vcc, v43, v32
	v_addc_co_u32_e32 v33, vcc, v44, v33, vcc
	v_mad_u64_u32 v[34:35], s[0:1], s3, v45, v[34:35]
	global_store_dwordx4 v[32:33], v[28:31], off
	v_add_u32_e32 v32, 0xf3, v38
	v_mad_u64_u32 v[30:31], s[0:1], s2, v32, 0
	v_mov_b32_e32 v42, v34
	v_lshlrev_b64 v[28:29], 4, v[41:42]
	v_mad_u64_u32 v[31:32], s[0:1], s3, v32, v[31:32]
	v_add_u32_e32 v34, 0x3cc, v38
	v_mad_u64_u32 v[32:33], s[0:1], s2, v34, 0
	v_add_co_u32_e32 v28, vcc, v43, v28
	v_addc_co_u32_e32 v29, vcc, v44, v29, vcc
	global_store_dwordx4 v[28:29], v[8:11], off
	s_movk_i32 s4, 0x5b2
	v_lshlrev_b64 v[8:9], 4, v[30:31]
	v_mov_b32_e32 v10, v33
	v_mad_u64_u32 v[10:11], s[0:1], s3, v34, v[10:11]
	v_add_co_u32_e32 v8, vcc, v43, v8
	v_addc_co_u32_e32 v9, vcc, v44, v9, vcc
	global_store_dwordx4 v[8:9], v[0:3], off
	v_add_u32_e32 v8, 0x6a5, v38
	v_mad_u64_u32 v[2:3], s[0:1], s2, v8, 0
	v_mov_b32_e32 v33, v10
	v_add_u32_e32 v10, 0x1e6, v38
	s_mov_b32 s0, 0x59e60383
	v_mul_hi_u32 v11, v10, s0
	v_mad_u64_u32 v[8:9], s[0:1], s3, v8, v[3:4]
	v_lshlrev_b64 v[0:1], 4, v[32:33]
	v_lshrrev_b32_e32 v3, 8, v11
	v_mad_u32_u24 v11, v3, s4, v10
	v_mad_u64_u32 v[9:10], s[0:1], s2, v11, 0
	v_add_co_u32_e32 v0, vcc, v43, v0
	v_addc_co_u32_e32 v1, vcc, v44, v1, vcc
	v_mov_b32_e32 v3, v8
	global_store_dwordx4 v[0:1], v[16:19], off
	v_lshlrev_b64 v[0:1], 4, v[2:3]
	v_mov_b32_e32 v2, v10
	v_mad_u64_u32 v[2:3], s[0:1], s3, v11, v[2:3]
	v_add_u32_e32 v8, 0x2d9, v11
	v_add_co_u32_e32 v0, vcc, v43, v0
	v_mov_b32_e32 v10, v2
	v_mad_u64_u32 v[2:3], s[0:1], s2, v8, 0
	v_addc_co_u32_e32 v1, vcc, v44, v1, vcc
	global_store_dwordx4 v[0:1], v[12:15], off
	v_lshlrev_b64 v[0:1], 4, v[9:10]
	v_mad_u64_u32 v[8:9], s[0:1], s3, v8, v[3:4]
	v_add_u32_e32 v11, 0x5b2, v11
	v_mad_u64_u32 v[9:10], s[0:1], s2, v11, 0
	v_add_co_u32_e32 v0, vcc, v43, v0
	v_addc_co_u32_e32 v1, vcc, v44, v1, vcc
	v_mov_b32_e32 v3, v8
	global_store_dwordx4 v[0:1], v[4:7], off
	v_lshlrev_b64 v[0:1], 4, v[2:3]
	v_mov_b32_e32 v2, v10
	v_mad_u64_u32 v[2:3], s[0:1], s3, v11, v[2:3]
	v_fma_f64 v[20:21], v[65:66], s[6:7], v[47:48]
	v_add_co_u32_e32 v0, vcc, v43, v0
	v_addc_co_u32_e32 v1, vcc, v44, v1, vcc
	v_mov_b32_e32 v10, v2
	global_store_dwordx4 v[0:1], v[24:27], off
	v_lshlrev_b64 v[0:1], 4, v[9:10]
	v_add_co_u32_e32 v0, vcc, v43, v0
	v_addc_co_u32_e32 v1, vcc, v44, v1, vcc
	global_store_dwordx4 v[0:1], v[20:23], off
.LBB0_15:
	s_endpgm
	.section	.rodata,"a",@progbits
	.p2align	6, 0x0
	.amdhsa_kernel fft_rtc_fwd_len2187_factors_3_3_3_3_3_3_3_wgs_243_tpt_243_halfLds_dp_ip_CI_sbrr_dirReg
		.amdhsa_group_segment_fixed_size 0
		.amdhsa_private_segment_fixed_size 0
		.amdhsa_kernarg_size 88
		.amdhsa_user_sgpr_count 6
		.amdhsa_user_sgpr_private_segment_buffer 1
		.amdhsa_user_sgpr_dispatch_ptr 0
		.amdhsa_user_sgpr_queue_ptr 0
		.amdhsa_user_sgpr_kernarg_segment_ptr 1
		.amdhsa_user_sgpr_dispatch_id 0
		.amdhsa_user_sgpr_flat_scratch_init 0
		.amdhsa_user_sgpr_private_segment_size 0
		.amdhsa_uses_dynamic_stack 0
		.amdhsa_system_sgpr_private_segment_wavefront_offset 0
		.amdhsa_system_sgpr_workgroup_id_x 1
		.amdhsa_system_sgpr_workgroup_id_y 0
		.amdhsa_system_sgpr_workgroup_id_z 0
		.amdhsa_system_sgpr_workgroup_info 0
		.amdhsa_system_vgpr_workitem_id 0
		.amdhsa_next_free_vgpr 79
		.amdhsa_next_free_sgpr 24
		.amdhsa_reserve_vcc 1
		.amdhsa_reserve_flat_scratch 0
		.amdhsa_float_round_mode_32 0
		.amdhsa_float_round_mode_16_64 0
		.amdhsa_float_denorm_mode_32 3
		.amdhsa_float_denorm_mode_16_64 3
		.amdhsa_dx10_clamp 1
		.amdhsa_ieee_mode 1
		.amdhsa_fp16_overflow 0
		.amdhsa_exception_fp_ieee_invalid_op 0
		.amdhsa_exception_fp_denorm_src 0
		.amdhsa_exception_fp_ieee_div_zero 0
		.amdhsa_exception_fp_ieee_overflow 0
		.amdhsa_exception_fp_ieee_underflow 0
		.amdhsa_exception_fp_ieee_inexact 0
		.amdhsa_exception_int_div_zero 0
	.end_amdhsa_kernel
	.text
.Lfunc_end0:
	.size	fft_rtc_fwd_len2187_factors_3_3_3_3_3_3_3_wgs_243_tpt_243_halfLds_dp_ip_CI_sbrr_dirReg, .Lfunc_end0-fft_rtc_fwd_len2187_factors_3_3_3_3_3_3_3_wgs_243_tpt_243_halfLds_dp_ip_CI_sbrr_dirReg
                                        ; -- End function
	.section	.AMDGPU.csdata,"",@progbits
; Kernel info:
; codeLenInByte = 8528
; NumSgprs: 28
; NumVgprs: 79
; ScratchSize: 0
; MemoryBound: 1
; FloatMode: 240
; IeeeMode: 1
; LDSByteSize: 0 bytes/workgroup (compile time only)
; SGPRBlocks: 3
; VGPRBlocks: 19
; NumSGPRsForWavesPerEU: 28
; NumVGPRsForWavesPerEU: 79
; Occupancy: 3
; WaveLimiterHint : 1
; COMPUTE_PGM_RSRC2:SCRATCH_EN: 0
; COMPUTE_PGM_RSRC2:USER_SGPR: 6
; COMPUTE_PGM_RSRC2:TRAP_HANDLER: 0
; COMPUTE_PGM_RSRC2:TGID_X_EN: 1
; COMPUTE_PGM_RSRC2:TGID_Y_EN: 0
; COMPUTE_PGM_RSRC2:TGID_Z_EN: 0
; COMPUTE_PGM_RSRC2:TIDIG_COMP_CNT: 0
	.type	__hip_cuid_b0b7f331b4c3174d,@object ; @__hip_cuid_b0b7f331b4c3174d
	.section	.bss,"aw",@nobits
	.globl	__hip_cuid_b0b7f331b4c3174d
__hip_cuid_b0b7f331b4c3174d:
	.byte	0                               ; 0x0
	.size	__hip_cuid_b0b7f331b4c3174d, 1

	.ident	"AMD clang version 19.0.0git (https://github.com/RadeonOpenCompute/llvm-project roc-6.4.0 25133 c7fe45cf4b819c5991fe208aaa96edf142730f1d)"
	.section	".note.GNU-stack","",@progbits
	.addrsig
	.addrsig_sym __hip_cuid_b0b7f331b4c3174d
	.amdgpu_metadata
---
amdhsa.kernels:
  - .args:
      - .actual_access:  read_only
        .address_space:  global
        .offset:         0
        .size:           8
        .value_kind:     global_buffer
      - .offset:         8
        .size:           8
        .value_kind:     by_value
      - .actual_access:  read_only
        .address_space:  global
        .offset:         16
        .size:           8
        .value_kind:     global_buffer
      - .actual_access:  read_only
        .address_space:  global
        .offset:         24
        .size:           8
        .value_kind:     global_buffer
      - .offset:         32
        .size:           8
        .value_kind:     by_value
      - .actual_access:  read_only
        .address_space:  global
        .offset:         40
        .size:           8
        .value_kind:     global_buffer
      - .actual_access:  read_only
        .address_space:  global
        .offset:         48
        .size:           8
        .value_kind:     global_buffer
      - .offset:         56
        .size:           4
        .value_kind:     by_value
      - .actual_access:  read_only
        .address_space:  global
        .offset:         64
        .size:           8
        .value_kind:     global_buffer
      - .actual_access:  read_only
        .address_space:  global
        .offset:         72
        .size:           8
        .value_kind:     global_buffer
      - .address_space:  global
        .offset:         80
        .size:           8
        .value_kind:     global_buffer
    .group_segment_fixed_size: 0
    .kernarg_segment_align: 8
    .kernarg_segment_size: 88
    .language:       OpenCL C
    .language_version:
      - 2
      - 0
    .max_flat_workgroup_size: 243
    .name:           fft_rtc_fwd_len2187_factors_3_3_3_3_3_3_3_wgs_243_tpt_243_halfLds_dp_ip_CI_sbrr_dirReg
    .private_segment_fixed_size: 0
    .sgpr_count:     28
    .sgpr_spill_count: 0
    .symbol:         fft_rtc_fwd_len2187_factors_3_3_3_3_3_3_3_wgs_243_tpt_243_halfLds_dp_ip_CI_sbrr_dirReg.kd
    .uniform_work_group_size: 1
    .uses_dynamic_stack: false
    .vgpr_count:     79
    .vgpr_spill_count: 0
    .wavefront_size: 64
amdhsa.target:   amdgcn-amd-amdhsa--gfx906
amdhsa.version:
  - 1
  - 2
...

	.end_amdgpu_metadata
